;; amdgpu-corpus repo=zjin-lcf/HeCBench kind=compiled arch=gfx1201 opt=O3
	.amdgcn_target "amdgcn-amd-amdhsa--gfx1201"
	.amdhsa_code_object_version 6
	.section	.text._Z21ref_fp32_cvt_e4m3fnuzIhfEvPT_PKT0_i,"axG",@progbits,_Z21ref_fp32_cvt_e4m3fnuzIhfEvPT_PKT0_i,comdat
	.protected	_Z21ref_fp32_cvt_e4m3fnuzIhfEvPT_PKT0_i ; -- Begin function _Z21ref_fp32_cvt_e4m3fnuzIhfEvPT_PKT0_i
	.globl	_Z21ref_fp32_cvt_e4m3fnuzIhfEvPT_PKT0_i
	.p2align	8
	.type	_Z21ref_fp32_cvt_e4m3fnuzIhfEvPT_PKT0_i,@function
_Z21ref_fp32_cvt_e4m3fnuzIhfEvPT_PKT0_i: ; @_Z21ref_fp32_cvt_e4m3fnuzIhfEvPT_PKT0_i
; %bb.0:
	s_clause 0x1
	s_load_b32 s2, s[0:1], 0x24
	s_load_b32 s3, s[0:1], 0x10
	s_wait_kmcnt 0x0
	s_and_b32 s2, s2, 0xffff
	s_delay_alu instid0(SALU_CYCLE_1)
	v_mad_co_u64_u32 v[0:1], null, ttmp9, s2, v[0:1]
	s_mov_b32 s2, exec_lo
	v_cmpx_gt_i32_e64 s3, v0
	s_cbranch_execz .LBB0_8
; %bb.1:
	s_load_b128 s[0:3], s[0:1], 0x0
	v_ashrrev_i32_e32 v1, 31, v0
	v_mov_b32_e32 v4, 0x80
	s_delay_alu instid0(VALU_DEP_2) | instskip(SKIP_1) | instid1(VALU_DEP_1)
	v_lshlrev_b64_e32 v[2:3], 2, v[0:1]
	s_wait_kmcnt 0x0
	v_add_co_u32 v2, vcc_lo, s2, v2
	s_delay_alu instid0(VALU_DEP_1) | instskip(SKIP_4) | instid1(VALU_DEP_1)
	v_add_co_ci_u32_e64 v3, null, s3, v3, vcc_lo
	s_mov_b32 s2, exec_lo
	global_load_b32 v2, v[2:3], off
	s_wait_loadcnt 0x0
	v_and_b32_e32 v3, 0x7fffffff, v2
	v_cmpx_gt_u32_e32 0x43800000, v3
	s_cbranch_execz .LBB0_7
; %bb.2:
	v_cmp_lt_u32_e32 vcc_lo, 0x3bffffff, v3
	s_mov_b32 s3, 0
                                        ; implicit-def: $vgpr3
	s_and_saveexec_b32 s4, vcc_lo
	s_delay_alu instid0(SALU_CYCLE_1)
	s_xor_b32 s4, exec_lo, s4
	s_cbranch_execnz .LBB0_9
; %bb.3:
	s_and_not1_saveexec_b32 s4, s4
	s_cbranch_execnz .LBB0_10
.LBB0_4:
	s_or_b32 exec_lo, exec_lo, s4
	v_mov_b32_e32 v4, 0
	s_wait_alu 0xfffe
	s_and_saveexec_b32 s4, s3
.LBB0_5:
	v_lshrrev_b32_e32 v2, 24, v2
	s_delay_alu instid0(VALU_DEP_1)
	v_and_or_b32 v4, 0x80, v2, v3
.LBB0_6:
	s_or_b32 exec_lo, exec_lo, s4
.LBB0_7:
	s_wait_alu 0xfffe
	s_or_b32 exec_lo, exec_lo, s2
	v_add_co_u32 v0, vcc_lo, s0, v0
	s_wait_alu 0xfffd
	v_add_co_ci_u32_e64 v1, null, s1, v1, vcc_lo
	global_store_b8 v[0:1], v4, off
.LBB0_8:
	s_endpgm
.LBB0_9:
	v_bfe_u32 v3, v2, 20, 1
	s_mov_b32 s3, exec_lo
	s_delay_alu instid0(VALU_DEP_1) | instskip(NEXT) | instid1(VALU_DEP_1)
	v_add3_u32 v3, v2, v3, 0x487ffff
	v_lshrrev_b32_e32 v3, 20, v3
	s_and_not1_saveexec_b32 s4, s4
	s_cbranch_execz .LBB0_4
.LBB0_10:
	v_add_f32_e64 v3, 0x46000000, |v2|
	s_wait_alu 0xfffe
	s_and_not1_b32 s3, s3, exec_lo
	s_delay_alu instid0(VALU_DEP_1) | instskip(NEXT) | instid1(VALU_DEP_1)
	v_and_b32_e32 v3, 0xff, v3
	v_cmp_ne_u32_e32 vcc_lo, 0, v3
	s_and_b32 s5, vcc_lo, exec_lo
	s_wait_alu 0xfffe
	s_or_b32 s3, s3, s5
	s_or_b32 exec_lo, exec_lo, s4
	v_mov_b32_e32 v4, 0
	s_wait_alu 0xfffe
	s_and_saveexec_b32 s4, s3
	s_cbranch_execnz .LBB0_5
	s_branch .LBB0_6
	.section	.rodata,"a",@progbits
	.p2align	6, 0x0
	.amdhsa_kernel _Z21ref_fp32_cvt_e4m3fnuzIhfEvPT_PKT0_i
		.amdhsa_group_segment_fixed_size 0
		.amdhsa_private_segment_fixed_size 0
		.amdhsa_kernarg_size 280
		.amdhsa_user_sgpr_count 2
		.amdhsa_user_sgpr_dispatch_ptr 0
		.amdhsa_user_sgpr_queue_ptr 0
		.amdhsa_user_sgpr_kernarg_segment_ptr 1
		.amdhsa_user_sgpr_dispatch_id 0
		.amdhsa_user_sgpr_private_segment_size 0
		.amdhsa_wavefront_size32 1
		.amdhsa_uses_dynamic_stack 0
		.amdhsa_enable_private_segment 0
		.amdhsa_system_sgpr_workgroup_id_x 1
		.amdhsa_system_sgpr_workgroup_id_y 0
		.amdhsa_system_sgpr_workgroup_id_z 0
		.amdhsa_system_sgpr_workgroup_info 0
		.amdhsa_system_vgpr_workitem_id 0
		.amdhsa_next_free_vgpr 5
		.amdhsa_next_free_sgpr 6
		.amdhsa_reserve_vcc 1
		.amdhsa_float_round_mode_32 0
		.amdhsa_float_round_mode_16_64 0
		.amdhsa_float_denorm_mode_32 3
		.amdhsa_float_denorm_mode_16_64 3
		.amdhsa_fp16_overflow 0
		.amdhsa_workgroup_processor_mode 1
		.amdhsa_memory_ordered 1
		.amdhsa_forward_progress 1
		.amdhsa_inst_pref_size 3
		.amdhsa_round_robin_scheduling 0
		.amdhsa_exception_fp_ieee_invalid_op 0
		.amdhsa_exception_fp_denorm_src 0
		.amdhsa_exception_fp_ieee_div_zero 0
		.amdhsa_exception_fp_ieee_overflow 0
		.amdhsa_exception_fp_ieee_underflow 0
		.amdhsa_exception_fp_ieee_inexact 0
		.amdhsa_exception_int_div_zero 0
	.end_amdhsa_kernel
	.section	.text._Z21ref_fp32_cvt_e4m3fnuzIhfEvPT_PKT0_i,"axG",@progbits,_Z21ref_fp32_cvt_e4m3fnuzIhfEvPT_PKT0_i,comdat
.Lfunc_end0:
	.size	_Z21ref_fp32_cvt_e4m3fnuzIhfEvPT_PKT0_i, .Lfunc_end0-_Z21ref_fp32_cvt_e4m3fnuzIhfEvPT_PKT0_i
                                        ; -- End function
	.set _Z21ref_fp32_cvt_e4m3fnuzIhfEvPT_PKT0_i.num_vgpr, 5
	.set _Z21ref_fp32_cvt_e4m3fnuzIhfEvPT_PKT0_i.num_agpr, 0
	.set _Z21ref_fp32_cvt_e4m3fnuzIhfEvPT_PKT0_i.numbered_sgpr, 6
	.set _Z21ref_fp32_cvt_e4m3fnuzIhfEvPT_PKT0_i.num_named_barrier, 0
	.set _Z21ref_fp32_cvt_e4m3fnuzIhfEvPT_PKT0_i.private_seg_size, 0
	.set _Z21ref_fp32_cvt_e4m3fnuzIhfEvPT_PKT0_i.uses_vcc, 1
	.set _Z21ref_fp32_cvt_e4m3fnuzIhfEvPT_PKT0_i.uses_flat_scratch, 0
	.set _Z21ref_fp32_cvt_e4m3fnuzIhfEvPT_PKT0_i.has_dyn_sized_stack, 0
	.set _Z21ref_fp32_cvt_e4m3fnuzIhfEvPT_PKT0_i.has_recursion, 0
	.set _Z21ref_fp32_cvt_e4m3fnuzIhfEvPT_PKT0_i.has_indirect_call, 0
	.section	.AMDGPU.csdata,"",@progbits
; Kernel info:
; codeLenInByte = 384
; TotalNumSgprs: 8
; NumVgprs: 5
; ScratchSize: 0
; MemoryBound: 0
; FloatMode: 240
; IeeeMode: 1
; LDSByteSize: 0 bytes/workgroup (compile time only)
; SGPRBlocks: 0
; VGPRBlocks: 0
; NumSGPRsForWavesPerEU: 8
; NumVGPRsForWavesPerEU: 5
; Occupancy: 16
; WaveLimiterHint : 0
; COMPUTE_PGM_RSRC2:SCRATCH_EN: 0
; COMPUTE_PGM_RSRC2:USER_SGPR: 2
; COMPUTE_PGM_RSRC2:TRAP_HANDLER: 0
; COMPUTE_PGM_RSRC2:TGID_X_EN: 1
; COMPUTE_PGM_RSRC2:TGID_Y_EN: 0
; COMPUTE_PGM_RSRC2:TGID_Z_EN: 0
; COMPUTE_PGM_RSRC2:TIDIG_COMP_CNT: 0
	.section	.text._Z13fp32_cvt_e4m3IhfEvPT_PKT0_i,"axG",@progbits,_Z13fp32_cvt_e4m3IhfEvPT_PKT0_i,comdat
	.protected	_Z13fp32_cvt_e4m3IhfEvPT_PKT0_i ; -- Begin function _Z13fp32_cvt_e4m3IhfEvPT_PKT0_i
	.globl	_Z13fp32_cvt_e4m3IhfEvPT_PKT0_i
	.p2align	8
	.type	_Z13fp32_cvt_e4m3IhfEvPT_PKT0_i,@function
_Z13fp32_cvt_e4m3IhfEvPT_PKT0_i:        ; @_Z13fp32_cvt_e4m3IhfEvPT_PKT0_i
; %bb.0:
	s_clause 0x1
	s_load_b32 s2, s[0:1], 0x24
	s_load_b32 s0, s[0:1], 0x10
	s_wait_kmcnt 0x0
	s_and_b32 s1, s2, 0xffff
	s_delay_alu instid0(SALU_CYCLE_1) | instskip(NEXT) | instid1(VALU_DEP_1)
	v_mad_co_u64_u32 v[0:1], null, ttmp9, s1, v[0:1]
	v_cmp_gt_i32_e32 vcc_lo, s0, v0
	s_and_saveexec_b32 s0, vcc_lo
	s_cbranch_execnz .LBB1_2
; %bb.1:
	s_endpgm
.LBB1_2:
	s_trap 2
	; divergent unreachable
	s_endpgm
	.section	.rodata,"a",@progbits
	.p2align	6, 0x0
	.amdhsa_kernel _Z13fp32_cvt_e4m3IhfEvPT_PKT0_i
		.amdhsa_group_segment_fixed_size 0
		.amdhsa_private_segment_fixed_size 0
		.amdhsa_kernarg_size 280
		.amdhsa_user_sgpr_count 2
		.amdhsa_user_sgpr_dispatch_ptr 0
		.amdhsa_user_sgpr_queue_ptr 0
		.amdhsa_user_sgpr_kernarg_segment_ptr 1
		.amdhsa_user_sgpr_dispatch_id 0
		.amdhsa_user_sgpr_private_segment_size 0
		.amdhsa_wavefront_size32 1
		.amdhsa_uses_dynamic_stack 0
		.amdhsa_enable_private_segment 0
		.amdhsa_system_sgpr_workgroup_id_x 1
		.amdhsa_system_sgpr_workgroup_id_y 0
		.amdhsa_system_sgpr_workgroup_id_z 0
		.amdhsa_system_sgpr_workgroup_info 0
		.amdhsa_system_vgpr_workitem_id 0
		.amdhsa_next_free_vgpr 2
		.amdhsa_next_free_sgpr 3
		.amdhsa_reserve_vcc 1
		.amdhsa_float_round_mode_32 0
		.amdhsa_float_round_mode_16_64 0
		.amdhsa_float_denorm_mode_32 3
		.amdhsa_float_denorm_mode_16_64 3
		.amdhsa_fp16_overflow 0
		.amdhsa_workgroup_processor_mode 1
		.amdhsa_memory_ordered 1
		.amdhsa_forward_progress 1
		.amdhsa_inst_pref_size 1
		.amdhsa_round_robin_scheduling 0
		.amdhsa_exception_fp_ieee_invalid_op 0
		.amdhsa_exception_fp_denorm_src 0
		.amdhsa_exception_fp_ieee_div_zero 0
		.amdhsa_exception_fp_ieee_overflow 0
		.amdhsa_exception_fp_ieee_underflow 0
		.amdhsa_exception_fp_ieee_inexact 0
		.amdhsa_exception_int_div_zero 0
	.end_amdhsa_kernel
	.section	.text._Z13fp32_cvt_e4m3IhfEvPT_PKT0_i,"axG",@progbits,_Z13fp32_cvt_e4m3IhfEvPT_PKT0_i,comdat
.Lfunc_end1:
	.size	_Z13fp32_cvt_e4m3IhfEvPT_PKT0_i, .Lfunc_end1-_Z13fp32_cvt_e4m3IhfEvPT_PKT0_i
                                        ; -- End function
	.set _Z13fp32_cvt_e4m3IhfEvPT_PKT0_i.num_vgpr, 2
	.set _Z13fp32_cvt_e4m3IhfEvPT_PKT0_i.num_agpr, 0
	.set _Z13fp32_cvt_e4m3IhfEvPT_PKT0_i.numbered_sgpr, 3
	.set _Z13fp32_cvt_e4m3IhfEvPT_PKT0_i.num_named_barrier, 0
	.set _Z13fp32_cvt_e4m3IhfEvPT_PKT0_i.private_seg_size, 0
	.set _Z13fp32_cvt_e4m3IhfEvPT_PKT0_i.uses_vcc, 1
	.set _Z13fp32_cvt_e4m3IhfEvPT_PKT0_i.uses_flat_scratch, 0
	.set _Z13fp32_cvt_e4m3IhfEvPT_PKT0_i.has_dyn_sized_stack, 0
	.set _Z13fp32_cvt_e4m3IhfEvPT_PKT0_i.has_recursion, 0
	.set _Z13fp32_cvt_e4m3IhfEvPT_PKT0_i.has_indirect_call, 0
	.section	.AMDGPU.csdata,"",@progbits
; Kernel info:
; codeLenInByte = 68
; TotalNumSgprs: 5
; NumVgprs: 2
; ScratchSize: 0
; MemoryBound: 0
; FloatMode: 240
; IeeeMode: 1
; LDSByteSize: 0 bytes/workgroup (compile time only)
; SGPRBlocks: 0
; VGPRBlocks: 0
; NumSGPRsForWavesPerEU: 5
; NumVGPRsForWavesPerEU: 2
; Occupancy: 16
; WaveLimiterHint : 0
; COMPUTE_PGM_RSRC2:SCRATCH_EN: 0
; COMPUTE_PGM_RSRC2:USER_SGPR: 2
; COMPUTE_PGM_RSRC2:TRAP_HANDLER: 0
; COMPUTE_PGM_RSRC2:TGID_X_EN: 1
; COMPUTE_PGM_RSRC2:TGID_Y_EN: 0
; COMPUTE_PGM_RSRC2:TGID_Z_EN: 0
; COMPUTE_PGM_RSRC2:TIDIG_COMP_CNT: 0
	.section	.text._Z21ref_fp32_cvt_e5m2fnuzIhfEvPT_PKT0_i,"axG",@progbits,_Z21ref_fp32_cvt_e5m2fnuzIhfEvPT_PKT0_i,comdat
	.protected	_Z21ref_fp32_cvt_e5m2fnuzIhfEvPT_PKT0_i ; -- Begin function _Z21ref_fp32_cvt_e5m2fnuzIhfEvPT_PKT0_i
	.globl	_Z21ref_fp32_cvt_e5m2fnuzIhfEvPT_PKT0_i
	.p2align	8
	.type	_Z21ref_fp32_cvt_e5m2fnuzIhfEvPT_PKT0_i,@function
_Z21ref_fp32_cvt_e5m2fnuzIhfEvPT_PKT0_i: ; @_Z21ref_fp32_cvt_e5m2fnuzIhfEvPT_PKT0_i
; %bb.0:
	s_clause 0x1
	s_load_b32 s2, s[0:1], 0x24
	s_load_b32 s3, s[0:1], 0x10
	s_wait_kmcnt 0x0
	s_and_b32 s2, s2, 0xffff
	s_delay_alu instid0(SALU_CYCLE_1)
	v_mad_co_u64_u32 v[0:1], null, ttmp9, s2, v[0:1]
	s_mov_b32 s2, exec_lo
	v_cmpx_gt_i32_e64 s3, v0
	s_cbranch_execz .LBB2_8
; %bb.1:
	s_load_b128 s[0:3], s[0:1], 0x0
	v_ashrrev_i32_e32 v1, 31, v0
	v_mov_b32_e32 v4, 0x80
	s_delay_alu instid0(VALU_DEP_2) | instskip(SKIP_1) | instid1(VALU_DEP_1)
	v_lshlrev_b64_e32 v[2:3], 2, v[0:1]
	s_wait_kmcnt 0x0
	v_add_co_u32 v2, vcc_lo, s2, v2
	s_delay_alu instid0(VALU_DEP_1) | instskip(SKIP_4) | instid1(VALU_DEP_1)
	v_add_co_ci_u32_e64 v3, null, s3, v3, vcc_lo
	s_mov_b32 s2, exec_lo
	global_load_b32 v2, v[2:3], off
	s_wait_loadcnt 0x0
	v_and_b32_e32 v3, 0x7fffffff, v2
	v_cmpx_gt_u32_e32 0x47800000, v3
	s_cbranch_execz .LBB2_7
; %bb.2:
	v_cmp_lt_u32_e32 vcc_lo, 0x37ffffff, v3
	s_mov_b32 s3, 0
                                        ; implicit-def: $vgpr3
	s_and_saveexec_b32 s4, vcc_lo
	s_delay_alu instid0(SALU_CYCLE_1)
	s_xor_b32 s4, exec_lo, s4
	s_cbranch_execnz .LBB2_9
; %bb.3:
	s_and_not1_saveexec_b32 s4, s4
	s_cbranch_execnz .LBB2_10
.LBB2_4:
	s_or_b32 exec_lo, exec_lo, s4
	v_mov_b32_e32 v4, 0
	s_wait_alu 0xfffe
	s_and_saveexec_b32 s4, s3
.LBB2_5:
	v_lshrrev_b32_e32 v2, 24, v2
	s_delay_alu instid0(VALU_DEP_1)
	v_and_or_b32 v4, 0x80, v2, v3
.LBB2_6:
	s_or_b32 exec_lo, exec_lo, s4
.LBB2_7:
	s_wait_alu 0xfffe
	s_or_b32 exec_lo, exec_lo, s2
	v_add_co_u32 v0, vcc_lo, s0, v0
	s_wait_alu 0xfffd
	v_add_co_ci_u32_e64 v1, null, s1, v1, vcc_lo
	global_store_b8 v[0:1], v4, off
.LBB2_8:
	s_endpgm
.LBB2_9:
	v_bfe_u32 v3, v2, 21, 1
	s_mov_b32 s3, exec_lo
	s_delay_alu instid0(VALU_DEP_1) | instskip(NEXT) | instid1(VALU_DEP_1)
	v_add3_u32 v3, v2, v3, 0x88fffff
	v_lshrrev_b32_e32 v3, 21, v3
	s_and_not1_saveexec_b32 s4, s4
	s_cbranch_execz .LBB2_4
.LBB2_10:
	v_add_f32_e64 v3, 0x42800000, |v2|
	s_wait_alu 0xfffe
	s_and_not1_b32 s3, s3, exec_lo
	s_delay_alu instid0(VALU_DEP_1) | instskip(NEXT) | instid1(VALU_DEP_1)
	v_and_b32_e32 v3, 0xff, v3
	v_cmp_ne_u32_e32 vcc_lo, 0, v3
	s_and_b32 s5, vcc_lo, exec_lo
	s_wait_alu 0xfffe
	s_or_b32 s3, s3, s5
	s_or_b32 exec_lo, exec_lo, s4
	v_mov_b32_e32 v4, 0
	s_wait_alu 0xfffe
	s_and_saveexec_b32 s4, s3
	s_cbranch_execnz .LBB2_5
	s_branch .LBB2_6
	.section	.rodata,"a",@progbits
	.p2align	6, 0x0
	.amdhsa_kernel _Z21ref_fp32_cvt_e5m2fnuzIhfEvPT_PKT0_i
		.amdhsa_group_segment_fixed_size 0
		.amdhsa_private_segment_fixed_size 0
		.amdhsa_kernarg_size 280
		.amdhsa_user_sgpr_count 2
		.amdhsa_user_sgpr_dispatch_ptr 0
		.amdhsa_user_sgpr_queue_ptr 0
		.amdhsa_user_sgpr_kernarg_segment_ptr 1
		.amdhsa_user_sgpr_dispatch_id 0
		.amdhsa_user_sgpr_private_segment_size 0
		.amdhsa_wavefront_size32 1
		.amdhsa_uses_dynamic_stack 0
		.amdhsa_enable_private_segment 0
		.amdhsa_system_sgpr_workgroup_id_x 1
		.amdhsa_system_sgpr_workgroup_id_y 0
		.amdhsa_system_sgpr_workgroup_id_z 0
		.amdhsa_system_sgpr_workgroup_info 0
		.amdhsa_system_vgpr_workitem_id 0
		.amdhsa_next_free_vgpr 5
		.amdhsa_next_free_sgpr 6
		.amdhsa_reserve_vcc 1
		.amdhsa_float_round_mode_32 0
		.amdhsa_float_round_mode_16_64 0
		.amdhsa_float_denorm_mode_32 3
		.amdhsa_float_denorm_mode_16_64 3
		.amdhsa_fp16_overflow 0
		.amdhsa_workgroup_processor_mode 1
		.amdhsa_memory_ordered 1
		.amdhsa_forward_progress 1
		.amdhsa_inst_pref_size 3
		.amdhsa_round_robin_scheduling 0
		.amdhsa_exception_fp_ieee_invalid_op 0
		.amdhsa_exception_fp_denorm_src 0
		.amdhsa_exception_fp_ieee_div_zero 0
		.amdhsa_exception_fp_ieee_overflow 0
		.amdhsa_exception_fp_ieee_underflow 0
		.amdhsa_exception_fp_ieee_inexact 0
		.amdhsa_exception_int_div_zero 0
	.end_amdhsa_kernel
	.section	.text._Z21ref_fp32_cvt_e5m2fnuzIhfEvPT_PKT0_i,"axG",@progbits,_Z21ref_fp32_cvt_e5m2fnuzIhfEvPT_PKT0_i,comdat
.Lfunc_end2:
	.size	_Z21ref_fp32_cvt_e5m2fnuzIhfEvPT_PKT0_i, .Lfunc_end2-_Z21ref_fp32_cvt_e5m2fnuzIhfEvPT_PKT0_i
                                        ; -- End function
	.set _Z21ref_fp32_cvt_e5m2fnuzIhfEvPT_PKT0_i.num_vgpr, 5
	.set _Z21ref_fp32_cvt_e5m2fnuzIhfEvPT_PKT0_i.num_agpr, 0
	.set _Z21ref_fp32_cvt_e5m2fnuzIhfEvPT_PKT0_i.numbered_sgpr, 6
	.set _Z21ref_fp32_cvt_e5m2fnuzIhfEvPT_PKT0_i.num_named_barrier, 0
	.set _Z21ref_fp32_cvt_e5m2fnuzIhfEvPT_PKT0_i.private_seg_size, 0
	.set _Z21ref_fp32_cvt_e5m2fnuzIhfEvPT_PKT0_i.uses_vcc, 1
	.set _Z21ref_fp32_cvt_e5m2fnuzIhfEvPT_PKT0_i.uses_flat_scratch, 0
	.set _Z21ref_fp32_cvt_e5m2fnuzIhfEvPT_PKT0_i.has_dyn_sized_stack, 0
	.set _Z21ref_fp32_cvt_e5m2fnuzIhfEvPT_PKT0_i.has_recursion, 0
	.set _Z21ref_fp32_cvt_e5m2fnuzIhfEvPT_PKT0_i.has_indirect_call, 0
	.section	.AMDGPU.csdata,"",@progbits
; Kernel info:
; codeLenInByte = 384
; TotalNumSgprs: 8
; NumVgprs: 5
; ScratchSize: 0
; MemoryBound: 0
; FloatMode: 240
; IeeeMode: 1
; LDSByteSize: 0 bytes/workgroup (compile time only)
; SGPRBlocks: 0
; VGPRBlocks: 0
; NumSGPRsForWavesPerEU: 8
; NumVGPRsForWavesPerEU: 5
; Occupancy: 16
; WaveLimiterHint : 0
; COMPUTE_PGM_RSRC2:SCRATCH_EN: 0
; COMPUTE_PGM_RSRC2:USER_SGPR: 2
; COMPUTE_PGM_RSRC2:TRAP_HANDLER: 0
; COMPUTE_PGM_RSRC2:TGID_X_EN: 1
; COMPUTE_PGM_RSRC2:TGID_Y_EN: 0
; COMPUTE_PGM_RSRC2:TGID_Z_EN: 0
; COMPUTE_PGM_RSRC2:TIDIG_COMP_CNT: 0
	.section	.text._Z13fp32_cvt_e5m2IhfEvPT_PKT0_i,"axG",@progbits,_Z13fp32_cvt_e5m2IhfEvPT_PKT0_i,comdat
	.protected	_Z13fp32_cvt_e5m2IhfEvPT_PKT0_i ; -- Begin function _Z13fp32_cvt_e5m2IhfEvPT_PKT0_i
	.globl	_Z13fp32_cvt_e5m2IhfEvPT_PKT0_i
	.p2align	8
	.type	_Z13fp32_cvt_e5m2IhfEvPT_PKT0_i,@function
_Z13fp32_cvt_e5m2IhfEvPT_PKT0_i:        ; @_Z13fp32_cvt_e5m2IhfEvPT_PKT0_i
; %bb.0:
	s_clause 0x1
	s_load_b32 s2, s[0:1], 0x24
	s_load_b32 s0, s[0:1], 0x10
	s_wait_kmcnt 0x0
	s_and_b32 s1, s2, 0xffff
	s_delay_alu instid0(SALU_CYCLE_1) | instskip(NEXT) | instid1(VALU_DEP_1)
	v_mad_co_u64_u32 v[0:1], null, ttmp9, s1, v[0:1]
	v_cmp_gt_i32_e32 vcc_lo, s0, v0
	s_and_saveexec_b32 s0, vcc_lo
	s_cbranch_execnz .LBB3_2
; %bb.1:
	s_endpgm
.LBB3_2:
	s_trap 2
	; divergent unreachable
	s_endpgm
	.section	.rodata,"a",@progbits
	.p2align	6, 0x0
	.amdhsa_kernel _Z13fp32_cvt_e5m2IhfEvPT_PKT0_i
		.amdhsa_group_segment_fixed_size 0
		.amdhsa_private_segment_fixed_size 0
		.amdhsa_kernarg_size 280
		.amdhsa_user_sgpr_count 2
		.amdhsa_user_sgpr_dispatch_ptr 0
		.amdhsa_user_sgpr_queue_ptr 0
		.amdhsa_user_sgpr_kernarg_segment_ptr 1
		.amdhsa_user_sgpr_dispatch_id 0
		.amdhsa_user_sgpr_private_segment_size 0
		.amdhsa_wavefront_size32 1
		.amdhsa_uses_dynamic_stack 0
		.amdhsa_enable_private_segment 0
		.amdhsa_system_sgpr_workgroup_id_x 1
		.amdhsa_system_sgpr_workgroup_id_y 0
		.amdhsa_system_sgpr_workgroup_id_z 0
		.amdhsa_system_sgpr_workgroup_info 0
		.amdhsa_system_vgpr_workitem_id 0
		.amdhsa_next_free_vgpr 2
		.amdhsa_next_free_sgpr 3
		.amdhsa_reserve_vcc 1
		.amdhsa_float_round_mode_32 0
		.amdhsa_float_round_mode_16_64 0
		.amdhsa_float_denorm_mode_32 3
		.amdhsa_float_denorm_mode_16_64 3
		.amdhsa_fp16_overflow 0
		.amdhsa_workgroup_processor_mode 1
		.amdhsa_memory_ordered 1
		.amdhsa_forward_progress 1
		.amdhsa_inst_pref_size 1
		.amdhsa_round_robin_scheduling 0
		.amdhsa_exception_fp_ieee_invalid_op 0
		.amdhsa_exception_fp_denorm_src 0
		.amdhsa_exception_fp_ieee_div_zero 0
		.amdhsa_exception_fp_ieee_overflow 0
		.amdhsa_exception_fp_ieee_underflow 0
		.amdhsa_exception_fp_ieee_inexact 0
		.amdhsa_exception_int_div_zero 0
	.end_amdhsa_kernel
	.section	.text._Z13fp32_cvt_e5m2IhfEvPT_PKT0_i,"axG",@progbits,_Z13fp32_cvt_e5m2IhfEvPT_PKT0_i,comdat
.Lfunc_end3:
	.size	_Z13fp32_cvt_e5m2IhfEvPT_PKT0_i, .Lfunc_end3-_Z13fp32_cvt_e5m2IhfEvPT_PKT0_i
                                        ; -- End function
	.set _Z13fp32_cvt_e5m2IhfEvPT_PKT0_i.num_vgpr, 2
	.set _Z13fp32_cvt_e5m2IhfEvPT_PKT0_i.num_agpr, 0
	.set _Z13fp32_cvt_e5m2IhfEvPT_PKT0_i.numbered_sgpr, 3
	.set _Z13fp32_cvt_e5m2IhfEvPT_PKT0_i.num_named_barrier, 0
	.set _Z13fp32_cvt_e5m2IhfEvPT_PKT0_i.private_seg_size, 0
	.set _Z13fp32_cvt_e5m2IhfEvPT_PKT0_i.uses_vcc, 1
	.set _Z13fp32_cvt_e5m2IhfEvPT_PKT0_i.uses_flat_scratch, 0
	.set _Z13fp32_cvt_e5m2IhfEvPT_PKT0_i.has_dyn_sized_stack, 0
	.set _Z13fp32_cvt_e5m2IhfEvPT_PKT0_i.has_recursion, 0
	.set _Z13fp32_cvt_e5m2IhfEvPT_PKT0_i.has_indirect_call, 0
	.section	.AMDGPU.csdata,"",@progbits
; Kernel info:
; codeLenInByte = 68
; TotalNumSgprs: 5
; NumVgprs: 2
; ScratchSize: 0
; MemoryBound: 0
; FloatMode: 240
; IeeeMode: 1
; LDSByteSize: 0 bytes/workgroup (compile time only)
; SGPRBlocks: 0
; VGPRBlocks: 0
; NumSGPRsForWavesPerEU: 5
; NumVGPRsForWavesPerEU: 2
; Occupancy: 16
; WaveLimiterHint : 0
; COMPUTE_PGM_RSRC2:SCRATCH_EN: 0
; COMPUTE_PGM_RSRC2:USER_SGPR: 2
; COMPUTE_PGM_RSRC2:TRAP_HANDLER: 0
; COMPUTE_PGM_RSRC2:TGID_X_EN: 1
; COMPUTE_PGM_RSRC2:TGID_Y_EN: 0
; COMPUTE_PGM_RSRC2:TGID_Z_EN: 0
; COMPUTE_PGM_RSRC2:TIDIG_COMP_CNT: 0
	.section	.AMDGPU.gpr_maximums,"",@progbits
	.set amdgpu.max_num_vgpr, 0
	.set amdgpu.max_num_agpr, 0
	.set amdgpu.max_num_sgpr, 0
	.section	.AMDGPU.csdata,"",@progbits
	.type	__hip_cuid_5fa8b623c8f69c44,@object ; @__hip_cuid_5fa8b623c8f69c44
	.section	.bss,"aw",@nobits
	.globl	__hip_cuid_5fa8b623c8f69c44
__hip_cuid_5fa8b623c8f69c44:
	.byte	0                               ; 0x0
	.size	__hip_cuid_5fa8b623c8f69c44, 1

	.ident	"AMD clang version 22.0.0git (https://github.com/RadeonOpenCompute/llvm-project roc-7.2.4 26084 f58b06dce1f9c15707c5f808fd002e18c2accf7e)"
	.section	".note.GNU-stack","",@progbits
	.addrsig
	.addrsig_sym __hip_cuid_5fa8b623c8f69c44
	.amdgpu_metadata
---
amdhsa.kernels:
  - .args:
      - .actual_access:  write_only
        .address_space:  global
        .offset:         0
        .size:           8
        .value_kind:     global_buffer
      - .actual_access:  read_only
        .address_space:  global
        .offset:         8
        .size:           8
        .value_kind:     global_buffer
      - .offset:         16
        .size:           4
        .value_kind:     by_value
      - .offset:         24
        .size:           4
        .value_kind:     hidden_block_count_x
      - .offset:         28
        .size:           4
        .value_kind:     hidden_block_count_y
      - .offset:         32
        .size:           4
        .value_kind:     hidden_block_count_z
      - .offset:         36
        .size:           2
        .value_kind:     hidden_group_size_x
      - .offset:         38
        .size:           2
        .value_kind:     hidden_group_size_y
      - .offset:         40
        .size:           2
        .value_kind:     hidden_group_size_z
      - .offset:         42
        .size:           2
        .value_kind:     hidden_remainder_x
      - .offset:         44
        .size:           2
        .value_kind:     hidden_remainder_y
      - .offset:         46
        .size:           2
        .value_kind:     hidden_remainder_z
      - .offset:         64
        .size:           8
        .value_kind:     hidden_global_offset_x
      - .offset:         72
        .size:           8
        .value_kind:     hidden_global_offset_y
      - .offset:         80
        .size:           8
        .value_kind:     hidden_global_offset_z
      - .offset:         88
        .size:           2
        .value_kind:     hidden_grid_dims
    .group_segment_fixed_size: 0
    .kernarg_segment_align: 8
    .kernarg_segment_size: 280
    .language:       OpenCL C
    .language_version:
      - 2
      - 0
    .max_flat_workgroup_size: 1024
    .name:           _Z21ref_fp32_cvt_e4m3fnuzIhfEvPT_PKT0_i
    .private_segment_fixed_size: 0
    .sgpr_count:     8
    .sgpr_spill_count: 0
    .symbol:         _Z21ref_fp32_cvt_e4m3fnuzIhfEvPT_PKT0_i.kd
    .uniform_work_group_size: 1
    .uses_dynamic_stack: false
    .vgpr_count:     5
    .vgpr_spill_count: 0
    .wavefront_size: 32
    .workgroup_processor_mode: 1
  - .args:
      - .actual_access:  read_only
        .address_space:  global
        .offset:         0
        .size:           8
        .value_kind:     global_buffer
      - .actual_access:  read_only
        .address_space:  global
        .offset:         8
        .size:           8
        .value_kind:     global_buffer
      - .offset:         16
        .size:           4
        .value_kind:     by_value
      - .offset:         24
        .size:           4
        .value_kind:     hidden_block_count_x
      - .offset:         28
        .size:           4
        .value_kind:     hidden_block_count_y
      - .offset:         32
        .size:           4
        .value_kind:     hidden_block_count_z
      - .offset:         36
        .size:           2
        .value_kind:     hidden_group_size_x
      - .offset:         38
        .size:           2
        .value_kind:     hidden_group_size_y
      - .offset:         40
        .size:           2
        .value_kind:     hidden_group_size_z
      - .offset:         42
        .size:           2
        .value_kind:     hidden_remainder_x
      - .offset:         44
        .size:           2
        .value_kind:     hidden_remainder_y
      - .offset:         46
        .size:           2
        .value_kind:     hidden_remainder_z
      - .offset:         64
        .size:           8
        .value_kind:     hidden_global_offset_x
      - .offset:         72
        .size:           8
        .value_kind:     hidden_global_offset_y
      - .offset:         80
        .size:           8
        .value_kind:     hidden_global_offset_z
      - .offset:         88
        .size:           2
        .value_kind:     hidden_grid_dims
    .group_segment_fixed_size: 0
    .kernarg_segment_align: 8
    .kernarg_segment_size: 280
    .language:       OpenCL C
    .language_version:
      - 2
      - 0
    .max_flat_workgroup_size: 1024
    .name:           _Z13fp32_cvt_e4m3IhfEvPT_PKT0_i
    .private_segment_fixed_size: 0
    .sgpr_count:     5
    .sgpr_spill_count: 0
    .symbol:         _Z13fp32_cvt_e4m3IhfEvPT_PKT0_i.kd
    .uniform_work_group_size: 1
    .uses_dynamic_stack: false
    .vgpr_count:     2
    .vgpr_spill_count: 0
    .wavefront_size: 32
    .workgroup_processor_mode: 1
  - .args:
      - .actual_access:  write_only
        .address_space:  global
        .offset:         0
        .size:           8
        .value_kind:     global_buffer
      - .actual_access:  read_only
        .address_space:  global
        .offset:         8
        .size:           8
        .value_kind:     global_buffer
      - .offset:         16
        .size:           4
        .value_kind:     by_value
      - .offset:         24
        .size:           4
        .value_kind:     hidden_block_count_x
      - .offset:         28
        .size:           4
        .value_kind:     hidden_block_count_y
      - .offset:         32
        .size:           4
        .value_kind:     hidden_block_count_z
      - .offset:         36
        .size:           2
        .value_kind:     hidden_group_size_x
      - .offset:         38
        .size:           2
        .value_kind:     hidden_group_size_y
      - .offset:         40
        .size:           2
        .value_kind:     hidden_group_size_z
      - .offset:         42
        .size:           2
        .value_kind:     hidden_remainder_x
      - .offset:         44
        .size:           2
        .value_kind:     hidden_remainder_y
      - .offset:         46
        .size:           2
        .value_kind:     hidden_remainder_z
      - .offset:         64
        .size:           8
        .value_kind:     hidden_global_offset_x
      - .offset:         72
        .size:           8
        .value_kind:     hidden_global_offset_y
      - .offset:         80
        .size:           8
        .value_kind:     hidden_global_offset_z
      - .offset:         88
        .size:           2
        .value_kind:     hidden_grid_dims
    .group_segment_fixed_size: 0
    .kernarg_segment_align: 8
    .kernarg_segment_size: 280
    .language:       OpenCL C
    .language_version:
      - 2
      - 0
    .max_flat_workgroup_size: 1024
    .name:           _Z21ref_fp32_cvt_e5m2fnuzIhfEvPT_PKT0_i
    .private_segment_fixed_size: 0
    .sgpr_count:     8
    .sgpr_spill_count: 0
    .symbol:         _Z21ref_fp32_cvt_e5m2fnuzIhfEvPT_PKT0_i.kd
    .uniform_work_group_size: 1
    .uses_dynamic_stack: false
    .vgpr_count:     5
    .vgpr_spill_count: 0
    .wavefront_size: 32
    .workgroup_processor_mode: 1
  - .args:
      - .actual_access:  read_only
        .address_space:  global
        .offset:         0
        .size:           8
        .value_kind:     global_buffer
      - .actual_access:  read_only
        .address_space:  global
        .offset:         8
        .size:           8
        .value_kind:     global_buffer
      - .offset:         16
        .size:           4
        .value_kind:     by_value
      - .offset:         24
        .size:           4
        .value_kind:     hidden_block_count_x
      - .offset:         28
        .size:           4
        .value_kind:     hidden_block_count_y
      - .offset:         32
        .size:           4
        .value_kind:     hidden_block_count_z
      - .offset:         36
        .size:           2
        .value_kind:     hidden_group_size_x
      - .offset:         38
        .size:           2
        .value_kind:     hidden_group_size_y
      - .offset:         40
        .size:           2
        .value_kind:     hidden_group_size_z
      - .offset:         42
        .size:           2
        .value_kind:     hidden_remainder_x
      - .offset:         44
        .size:           2
        .value_kind:     hidden_remainder_y
      - .offset:         46
        .size:           2
        .value_kind:     hidden_remainder_z
      - .offset:         64
        .size:           8
        .value_kind:     hidden_global_offset_x
      - .offset:         72
        .size:           8
        .value_kind:     hidden_global_offset_y
      - .offset:         80
        .size:           8
        .value_kind:     hidden_global_offset_z
      - .offset:         88
        .size:           2
        .value_kind:     hidden_grid_dims
    .group_segment_fixed_size: 0
    .kernarg_segment_align: 8
    .kernarg_segment_size: 280
    .language:       OpenCL C
    .language_version:
      - 2
      - 0
    .max_flat_workgroup_size: 1024
    .name:           _Z13fp32_cvt_e5m2IhfEvPT_PKT0_i
    .private_segment_fixed_size: 0
    .sgpr_count:     5
    .sgpr_spill_count: 0
    .symbol:         _Z13fp32_cvt_e5m2IhfEvPT_PKT0_i.kd
    .uniform_work_group_size: 1
    .uses_dynamic_stack: false
    .vgpr_count:     2
    .vgpr_spill_count: 0
    .wavefront_size: 32
    .workgroup_processor_mode: 1
amdhsa.target:   amdgcn-amd-amdhsa--gfx1201
amdhsa.version:
  - 1
  - 2
...

	.end_amdgpu_metadata
